;; amdgpu-corpus repo=ROCm/rocFFT kind=compiled arch=gfx950 opt=O3
	.text
	.amdgcn_target "amdgcn-amd-amdhsa--gfx950"
	.amdhsa_code_object_version 6
	.protected	fft_rtc_back_len216_factors_2_2_3_3_6_wgs_144_tpt_18_dim3_sp_ip_CI_sbcc_twdbase8_2step_dirReg ; -- Begin function fft_rtc_back_len216_factors_2_2_3_3_6_wgs_144_tpt_18_dim3_sp_ip_CI_sbcc_twdbase8_2step_dirReg
	.globl	fft_rtc_back_len216_factors_2_2_3_3_6_wgs_144_tpt_18_dim3_sp_ip_CI_sbcc_twdbase8_2step_dirReg
	.p2align	8
	.type	fft_rtc_back_len216_factors_2_2_3_3_6_wgs_144_tpt_18_dim3_sp_ip_CI_sbcc_twdbase8_2step_dirReg,@function
fft_rtc_back_len216_factors_2_2_3_3_6_wgs_144_tpt_18_dim3_sp_ip_CI_sbcc_twdbase8_2step_dirReg: ; @fft_rtc_back_len216_factors_2_2_3_3_6_wgs_144_tpt_18_dim3_sp_ip_CI_sbcc_twdbase8_2step_dirReg
; %bb.0:
	s_load_dwordx4 s[4:7], s[0:1], 0x10
	s_mov_b32 s3, 0
	s_mov_b64 s[18:19], 0
	s_waitcnt lgkmcnt(0)
	s_load_dwordx2 s[14:15], s[4:5], 0x8
	s_waitcnt lgkmcnt(0)
	s_add_u32 s8, s14, -1
	s_addc_u32 s9, s15, -1
	s_lshr_b64 s[8:9], s[8:9], 3
	s_add_u32 s16, s8, 1
	s_addc_u32 s17, s9, 0
	v_mov_b64_e32 v[2:3], s[16:17]
	v_cmp_lt_u64_e32 vcc, s[2:3], v[2:3]
	s_cbranch_vccnz .LBB0_2
; %bb.1:
	v_cvt_f32_u32_e32 v1, s16
	s_sub_i32 s8, 0, s16
	s_mov_b32 s19, s3
	v_rcp_iflag_f32_e32 v1, v1
	s_nop 0
	v_mul_f32_e32 v1, 0x4f7ffffe, v1
	v_cvt_u32_f32_e32 v1, v1
	s_nop 0
	v_readfirstlane_b32 s9, v1
	s_mul_i32 s8, s8, s9
	s_mul_hi_u32 s8, s9, s8
	s_add_i32 s9, s9, s8
	s_mul_hi_u32 s8, s2, s9
	s_mul_i32 s10, s8, s16
	s_sub_i32 s10, s2, s10
	s_add_i32 s9, s8, 1
	s_sub_i32 s11, s10, s16
	s_cmp_ge_u32 s10, s16
	s_cselect_b32 s8, s9, s8
	s_cselect_b32 s10, s11, s10
	s_add_i32 s9, s8, 1
	s_cmp_ge_u32 s10, s16
	s_cselect_b32 s18, s9, s8
.LBB0_2:
	s_load_dwordx2 s[10:11], s[4:5], 0x10
	s_load_dwordx2 s[8:9], s[6:7], 0x8
	s_mov_b64 s[20:21], s[18:19]
	s_waitcnt lgkmcnt(0)
	v_mov_b64_e32 v[2:3], s[10:11]
	v_cmp_lt_u64_e32 vcc, s[18:19], v[2:3]
	s_cbranch_vccnz .LBB0_4
; %bb.3:
	v_cvt_f32_u32_e32 v1, s10
	s_sub_i32 s4, 0, s10
	v_rcp_iflag_f32_e32 v1, v1
	s_nop 0
	v_mul_f32_e32 v1, 0x4f7ffffe, v1
	v_cvt_u32_f32_e32 v1, v1
	s_nop 0
	v_readfirstlane_b32 s5, v1
	s_mul_i32 s4, s4, s5
	s_mul_hi_u32 s4, s5, s4
	s_add_i32 s5, s5, s4
	s_mul_hi_u32 s4, s18, s5
	s_mul_i32 s4, s4, s10
	s_sub_i32 s4, s18, s4
	s_sub_i32 s5, s4, s10
	s_cmp_ge_u32 s4, s10
	s_cselect_b32 s4, s5, s4
	s_sub_i32 s5, s4, s10
	s_cmp_ge_u32 s4, s10
	s_cselect_b32 s20, s5, s4
.LBB0_4:
	s_mul_i32 s4, s10, s17
	s_mul_hi_u32 s5, s10, s16
	s_add_i32 s4, s5, s4
	s_mul_i32 s5, s11, s16
	s_load_dwordx2 s[12:13], s[0:1], 0x50
	s_add_i32 s11, s4, s5
	s_load_dwordx2 s[4:5], s[6:7], 0x0
	s_load_dwordx2 s[22:23], s[6:7], 0x10
	s_mul_i32 s10, s10, s16
	v_mov_b64_e32 v[2:3], s[10:11]
	v_cmp_lt_u64_e32 vcc, s[2:3], v[2:3]
	s_mov_b64 s[24:25], 0
	s_cbranch_vccnz .LBB0_6
; %bb.5:
	v_cvt_f32_u32_e32 v1, s10
	s_sub_i32 s3, 0, s10
	v_rcp_iflag_f32_e32 v1, v1
	s_nop 0
	v_mul_f32_e32 v1, 0x4f7ffffe, v1
	v_cvt_u32_f32_e32 v1, v1
	s_nop 0
	v_readfirstlane_b32 s11, v1
	s_mul_i32 s3, s3, s11
	s_mul_hi_u32 s3, s11, s3
	s_add_i32 s11, s11, s3
	s_mul_hi_u32 s3, s2, s11
	s_mul_i32 s19, s3, s10
	s_sub_i32 s19, s2, s19
	s_add_i32 s11, s3, 1
	s_sub_i32 s21, s19, s10
	s_cmp_ge_u32 s19, s10
	s_cselect_b32 s3, s11, s3
	s_cselect_b32 s19, s21, s19
	s_add_i32 s11, s3, 1
	s_cmp_ge_u32 s19, s10
	s_cselect_b32 s24, s11, s3
.LBB0_6:
	s_mul_i32 s3, s18, s17
	s_mul_hi_u32 s17, s18, s16
	s_add_i32 s17, s17, s3
	s_mul_i32 s3, s18, s16
	s_sub_u32 s2, s2, s3
	s_subb_u32 s3, 0, s17
	v_mov_b32_e32 v1, s2
	v_alignbit_b32 v1, s3, v1, 29
	s_lshl_b64 s[16:17], s[2:3], 3
	v_readfirstlane_b32 s2, v1
	s_mul_i32 s2, s8, s2
	s_mul_hi_u32 s3, s8, s16
	s_add_i32 s2, s3, s2
	s_mul_i32 s3, s9, s16
	s_add_i32 s18, s2, s3
	s_load_dwordx2 s[2:3], s[6:7], 0x18
	s_waitcnt lgkmcnt(0)
	s_mul_i32 s21, s23, s20
	s_mul_hi_u32 s23, s22, s20
	s_mul_i32 s19, s8, s16
	s_add_i32 s23, s23, s21
	s_mul_i32 s6, s22, s20
	s_add_u32 s6, s6, s19
	s_addc_u32 s7, s23, s18
	s_mul_i32 s3, s3, s24
	s_mul_hi_u32 s18, s2, s24
	s_add_i32 s18, s18, s3
	s_mul_i32 s2, s2, s24
	s_add_u32 s6, s2, s6
	s_load_dwordx2 s[10:11], s[0:1], 0x0
	s_addc_u32 s7, s18, s7
	v_and_b32_e32 v38, 7, v0
	v_or_b32_e32 v2, s16, v38
	s_add_u32 s16, s16, 8
	v_mov_b32_e32 v3, s17
	s_addc_u32 s17, s17, 0
	v_mov_b64_e32 v[4:5], s[14:15]
	v_cmp_gt_u64_e32 vcc, s[16:17], v[4:5]
	v_cmp_le_u64_e64 s[2:3], s[16:17], v[4:5]
	v_lshrrev_b32_e32 v39, 3, v0
	s_cbranch_vccz .LBB0_12
; %bb.7:
	v_cmp_le_u64_e32 vcc, s[14:15], v[2:3]
                                        ; implicit-def: $vgpr40
                                        ; implicit-def: $vgpr1
                                        ; implicit-def: $vgpr28
                                        ; implicit-def: $vgpr29
                                        ; implicit-def: $vgpr30
	s_and_saveexec_b64 s[16:17], vcc
	s_xor_b64 s[16:17], exec, s[16:17]
; %bb.8:
	v_add_u32_e32 v40, 18, v39
	v_add_u32_e32 v1, 36, v39
	;; [unrolled: 1-line block ×5, first 2 shown]
; %bb.9:
	s_or_saveexec_b64 s[16:17], s[16:17]
                                        ; implicit-def: $vgpr9
                                        ; implicit-def: $vgpr5
                                        ; implicit-def: $vgpr11
                                        ; implicit-def: $vgpr7
                                        ; implicit-def: $vgpr17
                                        ; implicit-def: $vgpr13
                                        ; implicit-def: $vgpr19
                                        ; implicit-def: $vgpr15
                                        ; implicit-def: $vgpr25
                                        ; implicit-def: $vgpr21
                                        ; implicit-def: $vgpr27
                                        ; implicit-def: $vgpr23
	s_xor_b64 exec, exec, s[16:17]
	s_cbranch_execz .LBB0_11
; %bb.10:
	v_mad_u64_u32 v[4:5], s[18:19], s8, v38, 0
	v_mov_b32_e32 v6, v5
	v_mad_u64_u32 v[6:7], s[18:19], s9, v38, v[6:7]
	v_mov_b32_e32 v5, v6
	;; [unrolled: 2-line block ×3, first 2 shown]
	v_mad_u64_u32 v[8:9], s[18:19], s5, v39, v[8:9]
	s_lshl_b64 s[18:19], s[6:7], 3
	s_add_u32 s18, s12, s18
	s_addc_u32 s19, s13, s19
	v_add_u32_e32 v1, 0x6c, v39
	v_mov_b32_e32 v7, v8
	v_lshl_add_u64 v[20:21], v[4:5], 3, s[18:19]
	v_mad_u64_u32 v[4:5], s[18:19], s4, v1, 0
	v_lshl_add_u64 v[12:13], v[6:7], 3, v[20:21]
	v_mov_b32_e32 v6, v5
	v_mad_u64_u32 v[6:7], s[18:19], s5, v1, v[6:7]
	v_mov_b32_e32 v5, v6
	v_add_u32_e32 v40, 18, v39
	v_lshl_add_u64 v[14:15], v[4:5], 3, v[20:21]
	v_mad_u64_u32 v[4:5], s[18:19], s4, v40, 0
	v_mov_b32_e32 v6, v5
	v_mad_u64_u32 v[6:7], s[18:19], s5, v40, v[6:7]
	v_mov_b32_e32 v5, v6
	v_add_u32_e32 v1, 0x7e, v39
	v_lshl_add_u64 v[16:17], v[4:5], 3, v[20:21]
	v_mad_u64_u32 v[4:5], s[18:19], s4, v1, 0
	v_mov_b32_e32 v6, v5
	v_mad_u64_u32 v[6:7], s[18:19], s5, v1, v[6:7]
	v_mov_b32_e32 v5, v6
	v_add_u32_e32 v1, 36, v39
	v_lshl_add_u64 v[18:19], v[4:5], 3, v[20:21]
	global_load_dwordx2 v[4:5], v[12:13], off
	global_load_dwordx2 v[8:9], v[14:15], off
	;; [unrolled: 1-line block ×4, first 2 shown]
	v_mad_u64_u32 v[12:13], s[18:19], s4, v1, 0
	v_mov_b32_e32 v14, v13
	v_mad_u64_u32 v[14:15], s[18:19], s5, v1, v[14:15]
	v_mov_b32_e32 v13, v14
	v_add_u32_e32 v15, 0x90, v39
	v_lshl_add_u64 v[22:23], v[12:13], 3, v[20:21]
	v_mad_u64_u32 v[12:13], s[18:19], s4, v15, 0
	v_mov_b32_e32 v14, v13
	v_mad_u64_u32 v[14:15], s[18:19], s5, v15, v[14:15]
	v_mov_b32_e32 v13, v14
	v_add_u32_e32 v28, 54, v39
	v_lshl_add_u64 v[24:25], v[12:13], 3, v[20:21]
	;; [unrolled: 6-line block ×4, first 2 shown]
	global_load_dwordx2 v[12:13], v[22:23], off
	global_load_dwordx2 v[16:17], v[24:25], off
	;; [unrolled: 1-line block ×4, first 2 shown]
	v_mad_u64_u32 v[22:23], s[18:19], s4, v29, 0
	v_mov_b32_e32 v24, v23
	v_mad_u64_u32 v[24:25], s[18:19], s5, v29, v[24:25]
	v_mov_b32_e32 v23, v24
	v_add_u32_e32 v25, 0xb4, v39
	v_lshl_add_u64 v[32:33], v[22:23], 3, v[20:21]
	v_mad_u64_u32 v[22:23], s[18:19], s4, v25, 0
	v_mov_b32_e32 v24, v23
	v_mad_u64_u32 v[24:25], s[18:19], s5, v25, v[24:25]
	v_mov_b32_e32 v23, v24
	v_add_u32_e32 v30, 0x5a, v39
	v_lshl_add_u64 v[34:35], v[22:23], 3, v[20:21]
	;; [unrolled: 6-line block ×3, first 2 shown]
	v_mad_u64_u32 v[22:23], s[18:19], s4, v25, 0
	v_mov_b32_e32 v24, v23
	v_mad_u64_u32 v[24:25], s[18:19], s5, v25, v[24:25]
	v_mov_b32_e32 v23, v24
	v_lshl_add_u64 v[42:43], v[22:23], 3, v[20:21]
	global_load_dwordx2 v[20:21], v[32:33], off
	global_load_dwordx2 v[24:25], v[34:35], off
	;; [unrolled: 1-line block ×4, first 2 shown]
.LBB0_11:
	s_or_b64 exec, exec, s[16:17]
	s_cbranch_execz .LBB0_13
	s_branch .LBB0_14
.LBB0_12:
                                        ; implicit-def: $vgpr9
                                        ; implicit-def: $vgpr5
                                        ; implicit-def: $vgpr11
                                        ; implicit-def: $vgpr7
                                        ; implicit-def: $vgpr17
                                        ; implicit-def: $vgpr13
                                        ; implicit-def: $vgpr19
                                        ; implicit-def: $vgpr15
                                        ; implicit-def: $vgpr25
                                        ; implicit-def: $vgpr21
                                        ; implicit-def: $vgpr27
                                        ; implicit-def: $vgpr23
                                        ; implicit-def: $vgpr40
                                        ; implicit-def: $vgpr1
                                        ; implicit-def: $vgpr28
                                        ; implicit-def: $vgpr29
                                        ; implicit-def: $vgpr30
.LBB0_13:
	s_waitcnt vmcnt(11)
	v_mad_u64_u32 v[4:5], s[16:17], s8, v38, 0
	s_waitcnt vmcnt(9)
	v_mov_b32_e32 v6, v5
	v_mad_u64_u32 v[6:7], s[16:17], s9, v38, v[6:7]
	v_mov_b32_e32 v5, v6
	v_mad_u64_u32 v[6:7], s[16:17], s4, v39, 0
	;; [unrolled: 2-line block ×3, first 2 shown]
	s_lshl_b64 s[16:17], s[6:7], 3
	s_add_u32 s16, s12, s16
	s_addc_u32 s17, s13, s17
	v_add_u32_e32 v1, 0x6c, v39
	v_mov_b32_e32 v7, v8
	s_waitcnt vmcnt(3)
	v_lshl_add_u64 v[20:21], v[4:5], 3, s[16:17]
	v_mad_u64_u32 v[4:5], s[16:17], s4, v1, 0
	v_lshl_add_u64 v[12:13], v[6:7], 3, v[20:21]
	v_mov_b32_e32 v6, v5
	v_mad_u64_u32 v[6:7], s[16:17], s5, v1, v[6:7]
	v_mov_b32_e32 v5, v6
	v_add_u32_e32 v40, 18, v39
	v_lshl_add_u64 v[14:15], v[4:5], 3, v[20:21]
	v_mad_u64_u32 v[4:5], s[16:17], s4, v40, 0
	v_mov_b32_e32 v6, v5
	v_mad_u64_u32 v[6:7], s[16:17], s5, v40, v[6:7]
	v_mov_b32_e32 v5, v6
	v_add_u32_e32 v1, 0x7e, v39
	v_lshl_add_u64 v[16:17], v[4:5], 3, v[20:21]
	v_mad_u64_u32 v[4:5], s[16:17], s4, v1, 0
	v_mov_b32_e32 v6, v5
	v_mad_u64_u32 v[6:7], s[16:17], s5, v1, v[6:7]
	v_mov_b32_e32 v5, v6
	v_add_u32_e32 v1, 36, v39
	v_lshl_add_u64 v[18:19], v[4:5], 3, v[20:21]
	global_load_dwordx2 v[4:5], v[12:13], off
	global_load_dwordx2 v[8:9], v[14:15], off
	;; [unrolled: 1-line block ×4, first 2 shown]
	v_mad_u64_u32 v[12:13], s[16:17], s4, v1, 0
	v_mov_b32_e32 v14, v13
	v_mad_u64_u32 v[14:15], s[16:17], s5, v1, v[14:15]
	v_mov_b32_e32 v13, v14
	v_add_u32_e32 v15, 0x90, v39
	s_waitcnt vmcnt(5)
	v_lshl_add_u64 v[22:23], v[12:13], 3, v[20:21]
	v_mad_u64_u32 v[12:13], s[16:17], s4, v15, 0
	v_mov_b32_e32 v14, v13
	v_mad_u64_u32 v[14:15], s[16:17], s5, v15, v[14:15]
	v_mov_b32_e32 v13, v14
	v_add_u32_e32 v28, 54, v39
	v_lshl_add_u64 v[24:25], v[12:13], 3, v[20:21]
	v_mad_u64_u32 v[12:13], s[16:17], s4, v28, 0
	v_mov_b32_e32 v14, v13
	v_mad_u64_u32 v[14:15], s[16:17], s5, v28, v[14:15]
	v_mov_b32_e32 v13, v14
	v_add_u32_e32 v15, 0xa2, v39
	s_waitcnt vmcnt(4)
	v_lshl_add_u64 v[26:27], v[12:13], 3, v[20:21]
	v_mad_u64_u32 v[12:13], s[16:17], s4, v15, 0
	v_mov_b32_e32 v14, v13
	v_mad_u64_u32 v[14:15], s[16:17], s5, v15, v[14:15]
	v_mov_b32_e32 v13, v14
	v_add_u32_e32 v29, 0x48, v39
	v_lshl_add_u64 v[30:31], v[12:13], 3, v[20:21]
	global_load_dwordx2 v[12:13], v[22:23], off
	global_load_dwordx2 v[16:17], v[24:25], off
	;; [unrolled: 1-line block ×4, first 2 shown]
	v_mad_u64_u32 v[22:23], s[16:17], s4, v29, 0
	v_mov_b32_e32 v24, v23
	v_mad_u64_u32 v[24:25], s[16:17], s5, v29, v[24:25]
	v_mov_b32_e32 v23, v24
	v_add_u32_e32 v25, 0xb4, v39
	v_lshl_add_u64 v[32:33], v[22:23], 3, v[20:21]
	v_mad_u64_u32 v[22:23], s[16:17], s4, v25, 0
	v_mov_b32_e32 v24, v23
	v_mad_u64_u32 v[24:25], s[16:17], s5, v25, v[24:25]
	v_mov_b32_e32 v23, v24
	v_add_u32_e32 v30, 0x5a, v39
	v_lshl_add_u64 v[34:35], v[22:23], 3, v[20:21]
	;; [unrolled: 6-line block ×3, first 2 shown]
	v_mad_u64_u32 v[22:23], s[16:17], s4, v25, 0
	v_mov_b32_e32 v24, v23
	v_mad_u64_u32 v[24:25], s[16:17], s5, v25, v[24:25]
	v_mov_b32_e32 v23, v24
	v_lshl_add_u64 v[42:43], v[22:23], 3, v[20:21]
	global_load_dwordx2 v[20:21], v[32:33], off
	global_load_dwordx2 v[24:25], v[34:35], off
	;; [unrolled: 1-line block ×4, first 2 shown]
.LBB0_14:
	s_waitcnt vmcnt(10)
	v_pk_add_f32 v[32:33], v[4:5], v[8:9] neg_lo:[0,1] neg_hi:[0,1]
	v_lshlrev_b32_e32 v9, 7, v39
	v_lshlrev_b32_e32 v8, 3, v38
	v_add3_u32 v9, 0, v9, v8
	v_pk_fma_f32 v[4:5], v[4:5], 2.0, v[32:33] op_sel_hi:[1,0,1] neg_lo:[0,0,1] neg_hi:[0,0,1]
	s_waitcnt vmcnt(8)
	v_pk_add_f32 v[10:11], v[6:7], v[10:11] neg_lo:[0,1] neg_hi:[0,1]
	ds_write2_b64 v9, v[4:5], v[32:33] offset1:8
	v_lshlrev_b32_e32 v4, 7, v40
	v_add3_u32 v31, 0, v4, v8
	v_pk_fma_f32 v[4:5], v[6:7], 2.0, v[10:11] op_sel_hi:[1,0,1] neg_lo:[0,0,1] neg_hi:[0,0,1]
	s_waitcnt vmcnt(6)
	v_pk_add_f32 v[16:17], v[12:13], v[16:17] neg_lo:[0,1] neg_hi:[0,1]
	ds_write2_b64 v31, v[4:5], v[10:11] offset1:8
	;; [unrolled: 6-line block ×5, first 2 shown]
	v_lshlrev_b32_e32 v4, 7, v30
	v_add3_u32 v11, 0, v4, v8
	v_pk_fma_f32 v[4:5], v[22:23], 2.0, v[26:27] op_sel_hi:[1,0,1] neg_lo:[0,0,1] neg_hi:[0,0,1]
	ds_write2_b64 v11, v[4:5], v[26:27] offset1:8
	v_bfe_u32 v4, v0, 3, 1
	v_lshlrev_b32_e32 v5, 3, v4
	s_waitcnt lgkmcnt(0)
	s_barrier
	global_load_dwordx2 v[18:19], v5, s[10:11]
	v_lshlrev_b32_e32 v5, 6, v39
	v_lshlrev_b32_e32 v17, 1, v39
	;; [unrolled: 1-line block ×3, first 2 shown]
	s_movk_i32 s16, 0x1fc
	v_lshlrev_b32_e32 v21, 1, v1
	v_lshlrev_b32_e32 v22, 1, v28
	;; [unrolled: 1-line block ×7, first 2 shown]
	v_and_or_b32 v17, v17, 60, v4
	v_and_or_b32 v20, v20, s16, v4
	;; [unrolled: 1-line block ×6, first 2 shown]
	v_sub_u32_e32 v42, v9, v5
	v_sub_u32_e32 v41, v31, v12
	;; [unrolled: 1-line block ×4, first 2 shown]
	v_lshlrev_b32_e32 v5, 6, v17
	v_lshlrev_b32_e32 v6, 6, v20
	;; [unrolled: 1-line block ×4, first 2 shown]
	v_add_u32_e32 v4, 0x2c00, v42
	v_lshlrev_b32_e32 v15, 6, v29
	v_add3_u32 v29, 0, v5, v8
	v_add3_u32 v43, 0, v6, v8
	v_add3_u32 v46, 0, v7, v8
	ds_read2_b64 v[4:7], v4 offset0:32 offset1:176
	v_lshlrev_b32_e32 v16, 6, v30
	v_sub_u32_e32 v35, v10, v15
	v_sub_u32_e32 v24, v11, v16
	v_lshlrev_b32_e32 v10, 6, v22
	v_lshlrev_b32_e32 v11, 6, v23
	v_add_u32_e32 v13, 0x1800, v42
	v_add_u32_e32 v14, 0x2400, v42
	v_add3_u32 v47, 0, v10, v8
	v_add3_u32 v48, 0, v11, v8
	;; [unrolled: 1-line block ×3, first 2 shown]
	ds_read2_b64 v[10:13], v13 offset0:96 offset1:240
	ds_read2_b64 v[14:17], v14 offset1:144
	ds_read_b64 v[22:23], v24
	ds_read_b64 v[26:27], v35
	s_mov_b32 s16, 0x3f5db3d7
	v_mul_lo_u16_e32 v60, 22, v39
	v_cmp_gt_u64_e32 vcc, s[14:15], v[2:3]
	s_or_b64 s[2:3], s[2:3], vcc
	s_waitcnt vmcnt(0) lgkmcnt(4)
	v_pk_mul_f32 v[20:21], v[18:19], v[6:7] op_sel:[0,1]
	s_nop 0
	v_pk_fma_f32 v[24:25], v[18:19], v[6:7], v[20:21] op_sel:[0,0,1] op_sel_hi:[1,1,0]
	v_pk_fma_f32 v[6:7], v[18:19], v[6:7], v[20:21] op_sel:[0,0,1] op_sel_hi:[1,0,0] neg_lo:[1,0,0] neg_hi:[1,0,0]
	s_nop 0
	v_mov_b32_e32 v25, v7
	s_waitcnt lgkmcnt(1)
	v_pk_add_f32 v[20:21], v[22:23], v[24:25] neg_lo:[0,1] neg_hi:[0,1]
	v_pk_mul_f32 v[24:25], v[18:19], v[4:5] op_sel:[0,1]
	ds_read_b64 v[6:7], v9
	v_pk_fma_f32 v[30:31], v[18:19], v[4:5], v[24:25] op_sel:[0,0,1] op_sel_hi:[1,1,0]
	v_pk_fma_f32 v[4:5], v[18:19], v[4:5], v[24:25] op_sel:[0,0,1] op_sel_hi:[1,0,0] neg_lo:[1,0,0] neg_hi:[1,0,0]
	v_pk_fma_f32 v[22:23], v[22:23], 2.0, v[20:21] op_sel_hi:[1,0,1] neg_lo:[0,0,1] neg_hi:[0,0,1]
	v_mov_b32_e32 v31, v5
	ds_read_b64 v[4:5], v34
	s_waitcnt lgkmcnt(2)
	v_pk_add_f32 v[24:25], v[26:27], v[30:31] neg_lo:[0,1] neg_hi:[0,1]
	v_pk_mul_f32 v[30:31], v[18:19], v[16:17] op_sel:[0,1]
	v_pk_fma_f32 v[26:27], v[26:27], 2.0, v[24:25] op_sel_hi:[1,0,1] neg_lo:[0,0,1] neg_hi:[0,0,1]
	v_pk_fma_f32 v[32:33], v[18:19], v[16:17], v[30:31] op_sel:[0,0,1] op_sel_hi:[1,1,0]
	v_pk_fma_f32 v[16:17], v[18:19], v[16:17], v[30:31] op_sel:[0,0,1] op_sel_hi:[1,0,0] neg_lo:[1,0,0] neg_hi:[1,0,0]
	v_pk_mul_f32 v[30:31], v[18:19], v[14:15] op_sel:[0,1]
	v_mov_b32_e32 v33, v17
	s_waitcnt lgkmcnt(1)
	v_pk_add_f32 v[16:17], v[6:7], v[32:33] neg_lo:[0,1] neg_hi:[0,1]
	v_pk_fma_f32 v[32:33], v[18:19], v[14:15], v[30:31] op_sel:[0,0,1] op_sel_hi:[1,1,0]
	v_pk_fma_f32 v[14:15], v[18:19], v[14:15], v[30:31] op_sel:[0,0,1] op_sel_hi:[1,0,0] neg_lo:[1,0,0] neg_hi:[1,0,0]
	v_pk_fma_f32 v[6:7], v[6:7], 2.0, v[16:17] op_sel_hi:[1,0,1] neg_lo:[0,0,1] neg_hi:[0,0,1]
	v_mov_b32_e32 v33, v15
	ds_read_b64 v[14:15], v41
	s_waitcnt lgkmcnt(1)
	v_pk_add_f32 v[30:31], v[4:5], v[32:33] neg_lo:[0,1] neg_hi:[0,1]
	v_pk_mul_f32 v[32:33], v[18:19], v[12:13] op_sel:[0,1]
	v_pk_fma_f32 v[4:5], v[4:5], 2.0, v[30:31] op_sel_hi:[1,0,1] neg_lo:[0,0,1] neg_hi:[0,0,1]
	v_pk_fma_f32 v[36:37], v[18:19], v[12:13], v[32:33] op_sel:[0,0,1] op_sel_hi:[1,1,0]
	v_pk_fma_f32 v[12:13], v[18:19], v[12:13], v[32:33] op_sel:[0,0,1] op_sel_hi:[1,0,0] neg_lo:[1,0,0] neg_hi:[1,0,0]
	s_nop 0
	v_mov_b32_e32 v37, v13
	ds_read_b64 v[12:13], v42
	s_waitcnt lgkmcnt(1)
	v_pk_add_f32 v[32:33], v[14:15], v[36:37] neg_lo:[0,1] neg_hi:[0,1]
	v_pk_mul_f32 v[36:37], v[18:19], v[10:11] op_sel:[0,1]
	v_pk_fma_f32 v[14:15], v[14:15], 2.0, v[32:33] op_sel_hi:[1,0,1] neg_lo:[0,0,1] neg_hi:[0,0,1]
	v_pk_fma_f32 v[44:45], v[18:19], v[10:11], v[36:37] op_sel:[0,0,1] op_sel_hi:[1,1,0]
	v_pk_fma_f32 v[10:11], v[18:19], v[10:11], v[36:37] op_sel:[0,0,1] op_sel_hi:[1,0,0] neg_lo:[1,0,0] neg_hi:[1,0,0]
	v_and_b32_e32 v18, 3, v28
	v_mov_b32_e32 v45, v11
	s_waitcnt lgkmcnt(0)
	v_pk_add_f32 v[10:11], v[12:13], v[44:45] neg_lo:[0,1] neg_hi:[0,1]
	s_nop 0
	v_pk_fma_f32 v[12:13], v[12:13], 2.0, v[10:11] op_sel_hi:[1,0,1] neg_lo:[0,0,1] neg_hi:[0,0,1]
	s_barrier
	ds_write2_b64 v29, v[12:13], v[10:11] offset1:16
	ds_write2_b64 v43, v[14:15], v[32:33] offset1:16
	;; [unrolled: 1-line block ×6, first 2 shown]
	v_lshlrev_b32_e32 v4, 4, v18
	s_waitcnt lgkmcnt(0)
	s_barrier
	global_load_dwordx4 v[4:7], v4, s[10:11] offset:16
	v_bfe_u32 v19, v0, 3, 2
	v_lshlrev_b32_e32 v10, 4, v19
	global_load_dwordx4 v[10:13], v10, s[10:11] offset:16
	v_and_b32_e32 v20, 3, v40
	v_lshlrev_b32_e32 v14, 4, v20
	global_load_dwordx4 v[14:17], v14, s[10:11] offset:16
	v_lshrrev_b32_e32 v21, 2, v40
	v_lshrrev_b32_e32 v0, 5, v0
	;; [unrolled: 1-line block ×3, first 2 shown]
	v_mul_lo_u32 v21, v21, 12
	v_lshrrev_b32_e32 v23, 2, v28
	v_mul_u32_u24_e32 v0, 12, v0
	v_mul_lo_u32 v22, v22, 12
	v_or_b32_e32 v20, v21, v20
	v_mul_lo_u32 v23, v23, 12
	v_or_b32_e32 v0, v0, v19
	v_or_b32_e32 v19, v22, v19
	v_add_u32_e32 v37, 0x1e00, v42
	v_add_u32_e32 v36, 0x1400, v42
	v_lshlrev_b32_e32 v22, 6, v20
	v_or_b32_e32 v29, v23, v18
	v_add_u32_e32 v43, 0x2800, v42
	v_lshlrev_b32_e32 v56, 6, v19
	ds_read2_b64 v[18:21], v37 offset0:48 offset1:192
	v_add3_u32 v58, 0, v22, v8
	ds_read2_b64 v[22:25], v36 offset0:80 offset1:224
	ds_read2_b64 v[30:33], v43 offset0:16 offset1:160
	ds_read_b64 v[26:27], v42 offset:12672
	v_lshlrev_b32_e32 v0, 6, v0
	v_add3_u32 v57, 0, v0, v8
	s_waitcnt vmcnt(2)
	v_mov_b32_e32 v0, v7
	s_waitcnt lgkmcnt(0)
	v_pk_mul_f32 v[48:49], v[26:27], v[0:1] op_sel_hi:[1,0]
	v_pk_mul_f32 v[44:45], v[18:19], v[4:5] op_sel:[0,1]
	v_pk_fma_f32 v[50:51], v[26:27], v[6:7], v[48:49] op_sel:[0,0,1] op_sel_hi:[1,1,0]
	v_pk_fma_f32 v[6:7], v[26:27], v[6:7], v[48:49] op_sel:[0,0,1] op_sel_hi:[1,0,0] neg_lo:[0,0,1] neg_hi:[0,0,1]
	s_waitcnt vmcnt(1)
	v_pk_mul_f32 v[26:27], v[10:11], v[24:25] op_sel:[0,1]
	v_pk_fma_f32 v[46:47], v[18:19], v[4:5], v[44:45] op_sel:[0,0,1] op_sel_hi:[1,1,0]
	v_pk_fma_f32 v[48:49], v[10:11], v[24:25], v[26:27] op_sel:[0,0,1] op_sel_hi:[1,1,0]
	v_pk_fma_f32 v[24:25], v[10:11], v[24:25], v[26:27] op_sel:[0,0,1] op_sel_hi:[1,0,0] neg_lo:[1,0,0] neg_hi:[1,0,0]
	s_waitcnt vmcnt(0)
	v_pk_mul_f32 v[26:27], v[14:15], v[22:23] op_sel:[0,1]
	v_pk_fma_f32 v[4:5], v[18:19], v[4:5], v[44:45] op_sel:[0,0,1] op_sel_hi:[1,0,0] neg_lo:[0,0,1] neg_hi:[0,0,1]
	v_pk_fma_f32 v[52:53], v[14:15], v[22:23], v[26:27] op_sel:[0,0,1] op_sel_hi:[1,1,0]
	v_pk_fma_f32 v[14:15], v[14:15], v[22:23], v[26:27] op_sel:[0,0,1] op_sel_hi:[1,0,0] neg_lo:[1,0,0] neg_hi:[1,0,0]
	v_pk_mul_f32 v[22:23], v[16:17], v[30:31] op_sel:[0,1]
	v_mov_b32_e32 v47, v5
	v_pk_fma_f32 v[26:27], v[16:17], v[30:31], v[22:23] op_sel:[0,0,1] op_sel_hi:[1,1,0]
	v_pk_fma_f32 v[16:17], v[16:17], v[30:31], v[22:23] op_sel:[0,0,1] op_sel_hi:[1,0,0] neg_lo:[1,0,0] neg_hi:[1,0,0]
	v_pk_mul_f32 v[22:23], v[12:13], v[32:33] op_sel:[0,1]
	ds_read_b64 v[4:5], v34
	ds_read_b64 v[18:19], v41
	ds_read_b64 v[44:45], v42
	v_pk_fma_f32 v[30:31], v[12:13], v[32:33], v[22:23] op_sel:[0,0,1] op_sel_hi:[1,1,0]
	v_pk_fma_f32 v[22:23], v[12:13], v[32:33], v[22:23] op_sel:[0,0,1] op_sel_hi:[1,0,0] neg_lo:[1,0,0] neg_hi:[1,0,0]
	ds_read_b64 v[32:33], v35
	ds_read_b64 v[54:55], v9
	v_mov_b32_e32 v27, v17
	v_mov_b32_e32 v49, v25
	;; [unrolled: 1-line block ×3, first 2 shown]
	s_waitcnt lgkmcnt(1)
	v_pk_mul_f32 v[16:17], v[10:11], v[32:33] op_sel:[0,1]
	s_waitcnt lgkmcnt(0)
	v_pk_fma_f32 v[24:25], v[10:11], v[32:33], v[16:17] op_sel:[0,0,1] op_sel_hi:[1,1,0]
	v_pk_fma_f32 v[10:11], v[10:11], v[32:33], v[16:17] op_sel:[0,0,1] op_sel_hi:[1,0,0] neg_lo:[1,0,0] neg_hi:[1,0,0]
	s_barrier
	v_mov_b32_e32 v25, v11
	v_pk_mul_f32 v[10:11], v[12:13], v[20:21] op_sel:[0,1]
	s_nop 0
	v_pk_fma_f32 v[16:17], v[12:13], v[20:21], v[10:11] op_sel:[0,0,1] op_sel_hi:[1,1,0]
	v_pk_fma_f32 v[10:11], v[12:13], v[20:21], v[10:11] op_sel:[0,0,1] op_sel_hi:[1,0,0] neg_lo:[1,0,0] neg_hi:[1,0,0]
	v_mov_b32_e32 v31, v23
	v_mov_b32_e32 v17, v11
	v_pk_add_f32 v[10:11], v[44:45], v[24:25]
	v_pk_add_f32 v[12:13], v[24:25], v[16:17]
	;; [unrolled: 1-line block ×3, first 2 shown]
	v_pk_add_f32 v[16:17], v[24:25], v[16:17] neg_lo:[0,1] neg_hi:[0,1]
	v_pk_fma_f32 v[12:13], v[12:13], 0.5, v[44:45] op_sel_hi:[1,0,1] neg_lo:[1,0,0] neg_hi:[1,0,0]
	v_pk_mul_f32 v[16:17], v[16:17], s[16:17] op_sel_hi:[1,0]
	v_pk_add_f32 v[22:23], v[4:5], v[48:49]
	v_pk_add_f32 v[20:21], v[12:13], v[16:17] op_sel:[0,1] op_sel_hi:[1,0] neg_lo:[0,1] neg_hi:[0,1]
	v_pk_add_f32 v[12:13], v[12:13], v[16:17] op_sel:[0,1] op_sel_hi:[1,0]
	v_mov_b32_e32 v16, v20
	v_mov_b32_e32 v17, v13
	;; [unrolled: 1-line block ×3, first 2 shown]
	ds_write2_b64 v57, v[10:11], v[16:17] offset1:32
	ds_write_b64 v57, v[12:13] offset:512
	v_pk_add_f32 v[10:11], v[52:53], v[26:27]
	v_pk_add_f32 v[12:13], v[52:53], v[26:27] neg_lo:[0,1] neg_hi:[0,1]
	v_pk_fma_f32 v[10:11], v[10:11], 0.5, v[18:19] op_sel_hi:[1,0,1] neg_lo:[1,0,0] neg_hi:[1,0,0]
	v_pk_mul_f32 v[12:13], v[12:13], s[16:17] op_sel_hi:[1,0]
	v_pk_add_f32 v[14:15], v[18:19], v[52:53]
	v_pk_add_f32 v[16:17], v[10:11], v[12:13] op_sel:[0,1] op_sel_hi:[1,0] neg_lo:[0,1] neg_hi:[0,1]
	v_pk_add_f32 v[10:11], v[10:11], v[12:13] op_sel:[0,1] op_sel_hi:[1,0]
	v_pk_add_f32 v[14:15], v[14:15], v[26:27]
	v_mov_b32_e32 v13, v11
	v_mov_b32_e32 v11, v17
	ds_write_b64 v58, v[10:11] offset:512
	v_pk_add_f32 v[10:11], v[48:49], v[30:31]
	v_mov_b32_e32 v12, v16
	v_pk_fma_f32 v[4:5], v[10:11], 0.5, v[4:5] op_sel_hi:[1,0,1] neg_lo:[1,0,0] neg_hi:[1,0,0]
	v_pk_add_f32 v[10:11], v[48:49], v[30:31] neg_lo:[0,1] neg_hi:[0,1]
	ds_write2_b64 v58, v[14:15], v[12:13] offset1:32
	v_pk_mul_f32 v[10:11], v[10:11], s[16:17] op_sel_hi:[1,0]
	v_add3_u32 v0, 0, v56, v8
	v_pk_add_f32 v[12:13], v[4:5], v[10:11] op_sel:[0,1] op_sel_hi:[1,0] neg_lo:[0,1] neg_hi:[0,1]
	v_pk_add_f32 v[4:5], v[4:5], v[10:11] op_sel:[0,1] op_sel_hi:[1,0]
	v_mov_b32_e32 v51, v7
	v_pk_add_f32 v[22:23], v[22:23], v[30:31]
	v_mov_b32_e32 v10, v12
	v_mov_b32_e32 v11, v5
	ds_write2_b64 v0, v[22:23], v[10:11] offset1:32
	v_pk_add_f32 v[10:11], v[46:47], v[50:51] neg_lo:[0,1] neg_hi:[0,1]
	v_mov_b32_e32 v5, v13
	v_pk_mul_f32 v[10:11], v[10:11], s[16:17] op_sel_hi:[1,0]
	s_movk_i32 s17, 0xab
	v_lshlrev_b32_e32 v6, 6, v29
	ds_write_b64 v0, v[4:5] offset:512
	v_pk_add_f32 v[4:5], v[46:47], v[50:51]
	v_mul_lo_u16_sdwa v0, v28, s17 dst_sel:DWORD dst_unused:UNUSED_PAD src0_sel:BYTE_0 src1_sel:DWORD
	v_add3_u32 v29, 0, v6, v8
	v_pk_add_f32 v[6:7], v[54:55], v[46:47]
	v_pk_fma_f32 v[4:5], v[4:5], 0.5, v[54:55] op_sel_hi:[1,0,1] neg_lo:[1,0,0] neg_hi:[1,0,0]
	v_lshrrev_b16_e32 v54, 11, v0
	v_mul_lo_u16_e32 v0, 12, v54
	v_sub_u16_e32 v0, v28, v0
	v_pk_add_f32 v[12:13], v[4:5], v[10:11] op_sel:[0,1] op_sel_hi:[1,0] neg_lo:[0,1] neg_hi:[0,1]
	v_pk_add_f32 v[4:5], v[4:5], v[10:11] op_sel:[0,1] op_sel_hi:[1,0]
	v_and_b32_e32 v55, 0xff, v0
	v_pk_add_f32 v[6:7], v[6:7], v[50:51]
	v_mov_b32_e32 v10, v12
	v_mov_b32_e32 v11, v5
	v_mov_b32_e32 v5, v13
	v_lshlrev_b32_e32 v0, 4, v55
	ds_write2_b64 v29, v[6:7], v[10:11] offset1:32
	ds_write_b64 v29, v[4:5] offset:512
	s_waitcnt lgkmcnt(0)
	s_barrier
	global_load_dwordx4 v[4:7], v0, s[10:11] offset:80
	v_mul_lo_u16_sdwa v0, v1, s17 dst_sel:DWORD dst_unused:UNUSED_PAD src0_sel:BYTE_0 src1_sel:DWORD
	v_lshrrev_b16_e32 v56, 11, v0
	v_mul_lo_u16_e32 v0, 12, v56
	v_sub_u16_e32 v0, v1, v0
	v_and_b32_e32 v57, 0xff, v0
	v_lshlrev_b32_e32 v0, 4, v57
	global_load_dwordx4 v[10:13], v0, s[10:11] offset:80
	v_mul_lo_u16_sdwa v0, v40, s17 dst_sel:DWORD dst_unused:UNUSED_PAD src0_sel:BYTE_0 src1_sel:DWORD
	v_lshrrev_b16_e32 v58, 11, v0
	v_mul_lo_u16_e32 v0, 12, v58
	v_sub_u16_e32 v0, v40, v0
	v_and_b32_e32 v59, 0xff, v0
	v_lshlrev_b32_e32 v0, 4, v59
	global_load_dwordx4 v[14:17], v0, s[10:11] offset:80
	v_mov_b32_e32 v0, 12
	v_mul_lo_u16_sdwa v0, v60, v0 dst_sel:DWORD dst_unused:UNUSED_PAD src0_sel:BYTE_1 src1_sel:DWORD
	v_sub_u16_e32 v0, v39, v0
	v_and_b32_e32 v61, 0xff, v0
	v_lshlrev_b32_e32 v0, 4, v61
	global_load_dwordx4 v[18:21], v0, s[10:11] offset:80
	ds_read2_b64 v[22:25], v37 offset0:48 offset1:192
	ds_read2_b64 v[26:29], v36 offset0:80 offset1:224
	;; [unrolled: 1-line block ×3, first 2 shown]
	s_waitcnt vmcnt(3) lgkmcnt(2)
	v_pk_mul_f32 v[0:1], v[22:23], v[4:5] op_sel:[0,1]
	s_nop 0
	v_pk_fma_f32 v[44:45], v[22:23], v[4:5], v[0:1] op_sel:[0,0,1] op_sel_hi:[1,1,0]
	v_pk_fma_f32 v[0:1], v[22:23], v[4:5], v[0:1] op_sel:[0,0,1] op_sel_hi:[1,0,0] neg_lo:[0,0,1] neg_hi:[0,0,1]
	ds_read_b64 v[4:5], v42 offset:12672
	v_mov_b32_e32 v0, v7
	ds_read_b64 v[22:23], v41
	ds_read_b64 v[46:47], v34
	;; [unrolled: 1-line block ×3, first 2 shown]
	v_mov_b32_e32 v45, v1
	s_waitcnt lgkmcnt(3)
	v_pk_mul_f32 v[50:51], v[4:5], v[0:1] op_sel_hi:[1,0]
	s_nop 0
	v_pk_fma_f32 v[52:53], v[4:5], v[6:7], v[50:51] op_sel:[0,0,1] op_sel_hi:[1,1,0]
	v_pk_fma_f32 v[4:5], v[4:5], v[6:7], v[50:51] op_sel:[0,0,1] op_sel_hi:[1,0,0] neg_lo:[0,0,1] neg_hi:[0,0,1]
	s_waitcnt vmcnt(2)
	v_pk_mul_f32 v[6:7], v[10:11], v[28:29] op_sel:[0,1]
	v_mov_b32_e32 v0, v13
	v_pk_fma_f32 v[50:51], v[10:11], v[28:29], v[6:7] op_sel:[0,0,1] op_sel_hi:[1,1,0]
	v_pk_fma_f32 v[6:7], v[10:11], v[28:29], v[6:7] op_sel:[0,0,1] op_sel_hi:[1,0,0] neg_lo:[1,0,0] neg_hi:[1,0,0]
	v_pk_mul_f32 v[10:11], v[32:33], v[0:1] op_sel_hi:[1,0]
	v_mov_b32_e32 v0, 36
	v_mul_u32_u24_sdwa v0, v60, v0 dst_sel:DWORD dst_unused:UNUSED_PAD src0_sel:BYTE_1 src1_sel:DWORD
	v_add_lshl_u32 v0, v0, v61, 6
	v_pk_fma_f32 v[28:29], v[32:33], v[12:13], v[10:11] op_sel:[0,0,1] op_sel_hi:[1,1,0]
	v_pk_fma_f32 v[10:11], v[32:33], v[12:13], v[10:11] op_sel:[0,0,1] op_sel_hi:[1,0,0] neg_lo:[0,0,1] neg_hi:[0,0,1]
	v_add3_u32 v32, 0, v0, v8
	v_mul_u32_u24_e32 v0, 36, v56
	v_add_lshl_u32 v0, v0, v57, 6
	v_mul_u32_u24_e32 v4, 36, v58
	v_add3_u32 v56, 0, v0, v8
	v_mul_u32_u24_e32 v0, 36, v54
	v_add_lshl_u32 v4, v4, v59, 6
	v_add_lshl_u32 v0, v0, v55, 6
	v_add3_u32 v33, 0, v4, v8
	ds_read_b64 v[12:13], v9
	v_add3_u32 v54, 0, v0, v8
	ds_read_b64 v[8:9], v35
	v_mov_b32_e32 v53, v5
	s_waitcnt vmcnt(1)
	v_pk_mul_f32 v[4:5], v[14:15], v[26:27] op_sel:[0,1]
	v_mov_b32_e32 v51, v7
	v_pk_fma_f32 v[6:7], v[14:15], v[26:27], v[4:5] op_sel:[0,0,1] op_sel_hi:[1,1,0]
	v_pk_fma_f32 v[4:5], v[14:15], v[26:27], v[4:5] op_sel:[0,0,1] op_sel_hi:[1,0,0] neg_lo:[1,0,0] neg_hi:[1,0,0]
	s_waitcnt lgkmcnt(0)
	v_mov_b32_e32 v7, v5
	v_pk_mul_f32 v[4:5], v[16:17], v[30:31] op_sel:[0,1]
	s_barrier
	v_pk_fma_f32 v[14:15], v[16:17], v[30:31], v[4:5] op_sel:[0,0,1] op_sel_hi:[1,1,0]
	v_pk_fma_f32 v[4:5], v[16:17], v[30:31], v[4:5] op_sel:[0,0,1] op_sel_hi:[1,0,0] neg_lo:[1,0,0] neg_hi:[1,0,0]
	s_waitcnt vmcnt(0)
	v_pk_mul_f32 v[16:17], v[18:19], v[8:9] op_sel:[0,1]
	v_mov_b32_e32 v15, v5
	v_pk_fma_f32 v[26:27], v[18:19], v[8:9], v[16:17] op_sel:[0,0,1] op_sel_hi:[1,1,0]
	v_pk_fma_f32 v[8:9], v[18:19], v[8:9], v[16:17] op_sel:[0,0,1] op_sel_hi:[1,0,0] neg_lo:[1,0,0] neg_hi:[1,0,0]
	v_pk_add_f32 v[4:5], v[22:23], v[6:7]
	v_mov_b32_e32 v27, v9
	v_pk_mul_f32 v[8:9], v[20:21], v[24:25] op_sel:[0,1]
	s_nop 0
	v_pk_fma_f32 v[16:17], v[20:21], v[24:25], v[8:9] op_sel:[0,0,1] op_sel_hi:[1,1,0]
	v_pk_fma_f32 v[8:9], v[20:21], v[24:25], v[8:9] op_sel:[0,0,1] op_sel_hi:[1,0,0] neg_lo:[1,0,0] neg_hi:[1,0,0]
	v_pk_add_f32 v[4:5], v[4:5], v[14:15]
	v_mov_b32_e32 v17, v9
	v_pk_add_f32 v[8:9], v[48:49], v[26:27]
	v_pk_add_f32 v[18:19], v[26:27], v[16:17]
	;; [unrolled: 1-line block ×3, first 2 shown]
	v_pk_add_f32 v[16:17], v[26:27], v[16:17] neg_lo:[0,1] neg_hi:[0,1]
	v_pk_fma_f32 v[18:19], v[18:19], 0.5, v[48:49] op_sel_hi:[1,0,1] neg_lo:[1,0,0] neg_hi:[1,0,0]
	v_pk_mul_f32 v[16:17], v[16:17], s[16:17] op_sel_hi:[1,0]
	v_mov_b32_e32 v29, v11
	v_pk_add_f32 v[20:21], v[18:19], v[16:17] op_sel:[0,1] op_sel_hi:[1,0] neg_lo:[0,1] neg_hi:[0,1]
	v_pk_add_f32 v[16:17], v[18:19], v[16:17] op_sel:[0,1] op_sel_hi:[1,0]
	v_mov_b32_e32 v18, v20
	v_mov_b32_e32 v19, v17
	ds_write2_b64 v32, v[8:9], v[18:19] offset1:96
	v_pk_add_f32 v[8:9], v[6:7], v[14:15]
	v_pk_add_f32 v[6:7], v[6:7], v[14:15] neg_lo:[0,1] neg_hi:[0,1]
	v_pk_fma_f32 v[8:9], v[8:9], 0.5, v[22:23] op_sel_hi:[1,0,1] neg_lo:[1,0,0] neg_hi:[1,0,0]
	v_pk_mul_f32 v[6:7], v[6:7], s[16:17] op_sel_hi:[1,0]
	v_mov_b32_e32 v17, v21
	v_pk_add_f32 v[14:15], v[8:9], v[6:7] op_sel:[0,1] op_sel_hi:[1,0] neg_lo:[0,1] neg_hi:[0,1]
	v_pk_add_f32 v[6:7], v[8:9], v[6:7] op_sel:[0,1] op_sel_hi:[1,0]
	v_mov_b32_e32 v8, v14
	v_mov_b32_e32 v9, v7
	;; [unrolled: 1-line block ×3, first 2 shown]
	ds_write_b64 v32, v[16:17] offset:1536
	ds_write2_b64 v33, v[4:5], v[8:9] offset1:96
	ds_write_b64 v33, v[6:7] offset:1536
	v_pk_add_f32 v[4:5], v[50:51], v[28:29]
	v_pk_add_f32 v[6:7], v[50:51], v[28:29] neg_lo:[0,1] neg_hi:[0,1]
	v_pk_fma_f32 v[4:5], v[4:5], 0.5, v[46:47] op_sel_hi:[1,0,1] neg_lo:[1,0,0] neg_hi:[1,0,0]
	v_pk_mul_f32 v[6:7], v[6:7], s[16:17] op_sel_hi:[1,0]
	v_pk_add_f32 v[10:11], v[46:47], v[50:51]
	v_pk_add_f32 v[8:9], v[4:5], v[6:7] op_sel:[0,1] op_sel_hi:[1,0] neg_lo:[0,1] neg_hi:[0,1]
	v_pk_add_f32 v[4:5], v[4:5], v[6:7] op_sel:[0,1] op_sel_hi:[1,0]
	v_pk_add_f32 v[10:11], v[10:11], v[28:29]
	v_mov_b32_e32 v6, v8
	v_mov_b32_e32 v7, v5
	;; [unrolled: 1-line block ×3, first 2 shown]
	ds_write2_b64 v56, v[10:11], v[6:7] offset1:96
	ds_write_b64 v56, v[4:5] offset:1536
	v_pk_add_f32 v[4:5], v[44:45], v[52:53]
	v_pk_add_f32 v[6:7], v[44:45], v[52:53] neg_lo:[0,1] neg_hi:[0,1]
	v_pk_fma_f32 v[4:5], v[4:5], 0.5, v[12:13] op_sel_hi:[1,0,1] neg_lo:[1,0,0] neg_hi:[1,0,0]
	v_pk_mul_f32 v[6:7], v[6:7], s[16:17] op_sel_hi:[1,0]
	v_pk_add_f32 v[0:1], v[12:13], v[44:45]
	v_pk_add_f32 v[8:9], v[4:5], v[6:7] op_sel:[0,1] op_sel_hi:[1,0] neg_lo:[0,1] neg_hi:[0,1]
	v_pk_add_f32 v[4:5], v[4:5], v[6:7] op_sel:[0,1] op_sel_hi:[1,0]
	v_pk_add_f32 v[0:1], v[0:1], v[52:53]
	v_mov_b32_e32 v6, v8
	v_mov_b32_e32 v7, v5
	;; [unrolled: 1-line block ×3, first 2 shown]
	ds_write2_b64 v54, v[0:1], v[6:7] offset1:96
	ds_write_b64 v54, v[4:5] offset:1536
	s_waitcnt lgkmcnt(0)
	s_barrier
	s_and_saveexec_b64 s[14:15], s[2:3]
	s_cbranch_execz .LBB0_16
; %bb.15:
	v_mov_b32_e32 v0, 57
	v_mul_lo_u16_sdwa v0, v40, v0 dst_sel:DWORD dst_unused:UNUSED_PAD src0_sel:BYTE_0 src1_sel:DWORD
	v_lshrrev_b16_e32 v44, 11, v0
	v_mul_lo_u16_e32 v0, 36, v44
	s_load_dwordx2 s[0:1], s[0:1], 0x8
	v_sub_u16_e32 v0, v40, v0
	v_and_b32_e32 v45, 0xff, v0
	v_add_u32_e32 v0, 0xb4, v45
	v_mul_lo_u32 v3, v2, v0
	v_mov_b32_e32 v50, 3
	v_add_u32_e32 v0, 0x90, v45
	v_lshlrev_b32_sdwa v8, v50, v3 dst_sel:DWORD dst_unused:UNUSED_PAD src0_sel:DWORD src1_sel:BYTE_1
	v_mul_lo_u32 v0, v2, v0
	v_lshlrev_b32_sdwa v9, v50, v0 dst_sel:DWORD dst_unused:UNUSED_PAD src0_sel:DWORD src1_sel:BYTE_0
	v_lshlrev_b32_sdwa v10, v50, v0 dst_sel:DWORD dst_unused:UNUSED_PAD src0_sel:DWORD src1_sel:BYTE_1
	s_waitcnt lgkmcnt(0)
	global_load_dwordx2 v[0:1], v8, s[0:1] offset:2048
	global_load_dwordx2 v[4:5], v9, s[0:1]
	global_load_dwordx2 v[6:7], v10, s[0:1] offset:2048
	v_add_u32_e32 v8, 0x48, v45
	v_mul_lo_u32 v8, v2, v8
	v_lshlrev_b32_sdwa v12, v50, v8 dst_sel:DWORD dst_unused:UNUSED_PAD src0_sel:DWORD src1_sel:BYTE_0
	v_lshlrev_b32_sdwa v13, v50, v8 dst_sel:DWORD dst_unused:UNUSED_PAD src0_sel:DWORD src1_sel:BYTE_1
	global_load_dwordx2 v[8:9], v12, s[0:1]
	global_load_dwordx2 v[10:11], v13, s[0:1] offset:2048
	v_add_u32_e32 v12, 36, v45
	v_mul_lo_u32 v12, v2, v12
	v_lshlrev_b32_sdwa v3, v50, v3 dst_sel:DWORD dst_unused:UNUSED_PAD src0_sel:DWORD src1_sel:BYTE_0
	v_lshlrev_b32_sdwa v16, v50, v12 dst_sel:DWORD dst_unused:UNUSED_PAD src0_sel:DWORD src1_sel:BYTE_0
	v_lshlrev_b32_sdwa v17, v50, v12 dst_sel:DWORD dst_unused:UNUSED_PAD src0_sel:DWORD src1_sel:BYTE_1
	global_load_dwordx2 v[12:13], v16, s[0:1]
	global_load_dwordx2 v[20:21], v17, s[0:1] offset:2048
	global_load_dwordx2 v[14:15], v3, s[0:1]
	v_add_u32_e32 v3, 0x6c, v45
	v_mul_lo_u32 v3, v2, v3
	v_lshlrev_b32_sdwa v16, v50, v3 dst_sel:DWORD dst_unused:UNUSED_PAD src0_sel:DWORD src1_sel:BYTE_1
	v_lshlrev_b32_sdwa v3, v50, v3 dst_sel:DWORD dst_unused:UNUSED_PAD src0_sel:DWORD src1_sel:BYTE_0
	global_load_dwordx2 v[16:17], v16, s[0:1] offset:2048
	v_add_u32_e32 v46, 0xb4, v39
	global_load_dwordx2 v[18:19], v3, s[0:1]
	v_mul_lo_u32 v22, v2, v45
	v_mul_lo_u32 v3, v2, v46
	v_lshlrev_b32_sdwa v24, v50, v22 dst_sel:DWORD dst_unused:UNUSED_PAD src0_sel:DWORD src1_sel:BYTE_0
	v_lshlrev_b32_sdwa v25, v50, v22 dst_sel:DWORD dst_unused:UNUSED_PAD src0_sel:DWORD src1_sel:BYTE_1
	global_load_dwordx2 v[22:23], v24, s[0:1]
	global_load_dwordx2 v[26:27], v25, s[0:1] offset:2048
	v_lshlrev_b32_sdwa v30, v50, v3 dst_sel:DWORD dst_unused:UNUSED_PAD src0_sel:DWORD src1_sel:BYTE_0
	v_lshlrev_b32_sdwa v3, v50, v3 dst_sel:DWORD dst_unused:UNUSED_PAD src0_sel:DWORD src1_sel:BYTE_1
	v_add_u32_e32 v47, 0x90, v39
	global_load_dwordx2 v[24:25], v30, s[0:1]
	global_load_dwordx2 v[28:29], v3, s[0:1] offset:2048
	v_add_u32_e32 v48, 0x6c, v39
	v_mul_lo_u32 v3, v2, v47
	v_mul_lo_u32 v32, v2, v48
	v_lshlrev_b32_sdwa v33, v50, v3 dst_sel:DWORD dst_unused:UNUSED_PAD src0_sel:DWORD src1_sel:BYTE_0
	v_lshlrev_b32_sdwa v3, v50, v3 dst_sel:DWORD dst_unused:UNUSED_PAD src0_sel:DWORD src1_sel:BYTE_1
	global_load_dwordx2 v[30:31], v33, s[0:1]
	global_load_dwordx2 v[68:69], v3, s[0:1] offset:2048
	v_lshlrev_b32_sdwa v3, v50, v32 dst_sel:DWORD dst_unused:UNUSED_PAD src0_sel:DWORD src1_sel:BYTE_0
	v_lshlrev_b32_sdwa v49, v50, v32 dst_sel:DWORD dst_unused:UNUSED_PAD src0_sel:DWORD src1_sel:BYTE_1
	global_load_dwordx2 v[32:33], v3, s[0:1]
	global_load_dwordx2 v[70:71], v49, s[0:1] offset:2048
	v_add_u32_e32 v49, 0x48, v39
	v_mul_lo_u32 v3, v2, v49
	v_lshlrev_b32_sdwa v51, v50, v3 dst_sel:DWORD dst_unused:UNUSED_PAD src0_sel:DWORD src1_sel:BYTE_0
	v_lshlrev_b32_sdwa v3, v50, v3 dst_sel:DWORD dst_unused:UNUSED_PAD src0_sel:DWORD src1_sel:BYTE_1
	global_load_dwordx2 v[72:73], v51, s[0:1]
	global_load_dwordx2 v[74:75], v3, s[0:1] offset:2048
	v_mul_u32_u24_e32 v3, 5, v39
	v_lshlrev_b32_e32 v58, 3, v3
	v_add_u32_e32 v82, 36, v39
	global_load_dwordx4 v[60:63], v58, s[10:11] offset:272
	v_mul_lo_u32 v3, v2, v82
	v_lshlrev_b32_sdwa v51, v50, v3 dst_sel:DWORD dst_unused:UNUSED_PAD src0_sel:DWORD src1_sel:BYTE_0
	v_lshlrev_b32_sdwa v52, v50, v3 dst_sel:DWORD dst_unused:UNUSED_PAD src0_sel:DWORD src1_sel:BYTE_1
	v_mul_lo_u32 v53, v2, v39
	global_load_dwordx2 v[2:3], v51, s[0:1]
	global_load_dwordx2 v[76:77], v52, s[0:1] offset:2048
	v_lshlrev_b32_sdwa v51, v50, v53 dst_sel:DWORD dst_unused:UNUSED_PAD src0_sel:DWORD src1_sel:BYTE_0
	v_lshlrev_b32_sdwa v50, v50, v53 dst_sel:DWORD dst_unused:UNUSED_PAD src0_sel:DWORD src1_sel:BYTE_1
	global_load_dwordx2 v[78:79], v51, s[0:1]
	global_load_dwordx2 v[80:81], v50, s[0:1] offset:2048
	global_load_dwordx4 v[64:67], v58, s[10:11] offset:288
	s_mov_b32 s0, -0.5
	s_mov_b32 s1, s16
	s_waitcnt vmcnt(23)
	v_mul_f32_e32 v56, v4, v7
	v_mul_f32_e32 v50, v5, v7
	v_fmac_f32_e32 v56, v5, v6
	v_fma_f32 v55, v4, v6, -v50
	v_mov_b32_e32 v4, v1
	s_waitcnt vmcnt(21)
	v_mul_f32_e32 v5, v9, v11
	v_fma_f32 v52, v8, v10, -v5
	v_mul_f32_e32 v53, v8, v11
	v_fmac_f32_e32 v53, v9, v10
	s_waitcnt vmcnt(19)
	v_mul_f32_e32 v5, v13, v21
	s_waitcnt vmcnt(18)
	v_pk_mul_f32 v[6:7], v[14:15], v[0:1] op_sel:[1,0] op_sel_hi:[0,1]
	v_mul_f32_e32 v51, v12, v21
	v_fma_f32 v50, v12, v20, -v5
	v_pk_mul_f32 v[4:5], v[14:15], v[4:5] op_sel:[1,0] op_sel_hi:[0,1]
	v_mov_b32_e32 v8, v7
	v_fmac_f32_e32 v51, v13, v20
	v_pk_fma_f32 v[12:13], v[14:15], v[0:1], v[4:5] neg_lo:[0,0,1] neg_hi:[0,0,1]
	v_pk_fma_f32 v[14:15], v[14:15], v[0:1], v[8:9] op_sel:[1,0,0] op_sel_hi:[0,1,1]
	s_waitcnt vmcnt(16)
	v_pk_mul_f32 v[0:1], v[18:19], v[16:17] op_sel:[1,0] op_sel_hi:[0,1]
	v_mov_b32_e32 v0, v1
	v_pk_fma_f32 v[10:11], v[18:19], v[16:17], v[0:1] op_sel:[1,0,0] op_sel_hi:[0,1,1]
	v_mov_b32_e32 v6, v17
	s_waitcnt vmcnt(14)
	v_mul_f32_e32 v0, v23, v27
	v_fma_f32 v54, v22, v26, -v0
	v_pk_mul_f32 v[4:5], v[18:19], v[6:7] op_sel:[1,0] op_sel_hi:[0,1]
	v_pk_fma_f32 v[8:9], v[18:19], v[16:17], v[4:5] neg_lo:[0,0,1] neg_hi:[0,0,1]
	s_waitcnt vmcnt(12)
	v_mov_b32_e32 v0, v29
	v_pk_mul_f32 v[0:1], v[24:25], v[0:1] op_sel:[1,0] op_sel_hi:[0,1]
	v_pk_fma_f32 v[18:19], v[24:25], v[28:29], v[0:1] neg_lo:[0,0,1] neg_hi:[0,0,1]
	v_pk_mul_f32 v[0:1], v[24:25], v[28:29] op_sel:[1,0] op_sel_hi:[0,1]
	v_mul_f32_e32 v57, v22, v27
	v_mov_b32_e32 v0, v1
	s_waitcnt vmcnt(10)
	v_mul_f32_e32 v6, v31, v69
	v_fma_f32 v83, v30, v68, -v6
	v_fmac_f32_e32 v57, v23, v26
	s_waitcnt vmcnt(8)
	v_mov_b32_e32 v6, v71
	v_pk_fma_f32 v[22:23], v[24:25], v[28:29], v[0:1] op_sel:[1,0,0] op_sel_hi:[0,1,1]
	ds_read_b64 v[0:1], v35
	ds_read_b64 v[4:5], v34
	v_pk_mul_f32 v[6:7], v[32:33], v[6:7] op_sel:[1,0] op_sel_hi:[0,1]
	v_pk_fma_f32 v[20:21], v[32:33], v[70:71], v[6:7] neg_lo:[0,0,1] neg_hi:[0,0,1]
	v_pk_mul_f32 v[6:7], v[32:33], v[70:71] op_sel:[1,0] op_sel_hi:[0,1]
	v_mov_b32_e32 v6, v7
	v_pk_fma_f32 v[24:25], v[32:33], v[70:71], v[6:7] op_sel:[1,0,0] op_sel_hi:[0,1,1]
	s_waitcnt vmcnt(6)
	v_mul_f32_e32 v6, v73, v75
	v_fma_f32 v85, v72, v74, -v6
	s_waitcnt vmcnt(5) lgkmcnt(1)
	v_pk_mul_f32 v[6:7], v[62:63], v[0:1] op_sel:[0,1]
	v_mul_f32_e32 v72, v72, v75
	v_pk_fma_f32 v[26:27], v[62:63], v[0:1], v[6:7] op_sel:[0,0,1] op_sel_hi:[1,1,0]
	v_pk_fma_f32 v[34:35], v[62:63], v[0:1], v[6:7] op_sel:[0,0,1] op_sel_hi:[1,0,0] neg_lo:[1,0,0] neg_hi:[1,0,0]
	s_waitcnt lgkmcnt(0)
	v_pk_mul_f32 v[0:1], v[60:61], v[4:5] op_sel:[0,1]
	v_fmac_f32_e32 v72, v73, v74
	v_pk_fma_f32 v[28:29], v[60:61], v[4:5], v[0:1] op_sel:[0,0,1] op_sel_hi:[1,0,0]
	v_pk_fma_f32 v[16:17], v[60:61], v[4:5], v[0:1] op_sel:[0,0,1] op_sel_hi:[1,0,0] neg_lo:[1,0,0] neg_hi:[1,0,0]
	s_waitcnt vmcnt(3)
	v_mul_f32_e32 v0, v3, v77
	v_mul_f32_e32 v74, v2, v77
	v_fma_f32 v73, v2, v76, -v0
	v_fmac_f32_e32 v74, v3, v76
	s_waitcnt vmcnt(1)
	v_mul_f32_e32 v4, v79, v81
	ds_read2_b64 v[0:3], v37 offset0:48 offset1:192
	v_fma_f32 v75, v78, v80, -v4
	ds_read2_b64 v[4:7], v36 offset0:80 offset1:224
	v_mul_f32_e32 v84, v30, v69
	v_fmac_f32_e32 v84, v31, v68
	s_waitcnt vmcnt(0) lgkmcnt(1)
	v_pk_mul_f32 v[32:33], v[66:67], v[2:3] op_sel:[0,1]
	v_mov_b32_e32 v27, v35
	v_pk_fma_f32 v[30:31], v[66:67], v[2:3], v[32:33] op_sel:[0,0,1] op_sel_hi:[1,1,0]
	v_pk_fma_f32 v[36:37], v[66:67], v[2:3], v[32:33] op_sel:[0,0,1] op_sel_hi:[1,0,0] neg_lo:[1,0,0] neg_hi:[1,0,0]
	s_waitcnt lgkmcnt(0)
	v_pk_mul_f32 v[32:33], v[64:65], v[6:7] op_sel:[0,1]
	v_mov_b32_e32 v31, v37
	v_pk_fma_f32 v[2:3], v[64:65], v[6:7], v[32:33] op_sel:[0,0,1] op_sel_hi:[1,1,0]
	v_pk_fma_f32 v[32:33], v[64:65], v[6:7], v[32:33] op_sel:[0,0,1] op_sel_hi:[1,0,0] neg_lo:[1,0,0] neg_hi:[1,0,0]
	ds_read_b64 v[6:7], v42
	ds_read_b64 v[60:61], v42 offset:3456
	ds_read_b64 v[62:63], v42 offset:12672
	global_load_dwordx2 v[58:59], v58, s[10:11] offset:304
	v_pk_add_f32 v[34:35], v[26:27], v[30:31] neg_lo:[0,1] neg_hi:[0,1]
	v_pk_add_f32 v[36:37], v[26:27], v[30:31]
	v_pk_mul_f32 v[34:35], v[34:35], s[16:17] op_sel_hi:[1,0]
	s_waitcnt lgkmcnt(2)
	v_pk_fma_f32 v[36:37], v[36:37], 0.5, v[6:7] op_sel_hi:[1,0,1] neg_lo:[1,0,0] neg_hi:[1,0,0]
	v_mov_b32_e32 v3, v33
	v_pk_add_f32 v[64:65], v[36:37], v[34:35] op_sel:[0,1] op_sel_hi:[1,0]
	v_pk_add_f32 v[36:37], v[36:37], v[34:35] op_sel:[0,1] op_sel_hi:[1,0] neg_lo:[0,1] neg_hi:[0,1]
	ds_read2_b64 v[32:35], v43 offset0:16 offset1:160
	v_mov_b32_e32 v77, v28
	v_mov_b32_e32 v29, v17
	s_mov_b32 s17, 0.5
	v_pk_add_f32 v[6:7], v[6:7], v[26:27]
	v_mul_f32_e32 v76, v78, v81
	v_pk_add_f32 v[6:7], v[6:7], v[30:31]
	v_fmac_f32_e32 v76, v79, v80
	s_waitcnt vmcnt(0) lgkmcnt(0)
	v_pk_mul_f32 v[42:43], v[58:59], v[34:35] op_sel:[0,1]
	s_nop 0
	v_pk_fma_f32 v[66:67], v[58:59], v[34:35], v[42:43] op_sel:[0,0,1] op_sel_hi:[1,1,0]
	v_pk_fma_f32 v[34:35], v[58:59], v[34:35], v[42:43] op_sel:[0,0,1] op_sel_hi:[1,0,0] neg_lo:[1,0,0] neg_hi:[1,0,0]
	v_mov_b32_e32 v58, v64
	v_mov_b32_e32 v67, v35
	v_pk_add_f32 v[34:35], v[2:3], v[66:67]
	v_mov_b32_e32 v59, v37
	v_fmac_f32_e32 v77, -0.5, v34
	v_fmac_f32_e32 v17, -0.5, v35
	v_pk_add_f32 v[34:35], v[2:3], v[66:67] neg_lo:[0,1] neg_hi:[0,1]
	v_pk_add_f32 v[2:3], v[28:29], v[2:3]
	v_fmamk_f32 v16, v34, 0xbf5db3d7, v17
	v_pk_mul_f32 v[42:43], v[16:17], s[16:17] op_sel_hi:[0,1]
	v_fmamk_f32 v16, v35, 0x3f5db3d7, v77
	v_pk_fma_f32 v[42:43], v[16:17], s[0:1], v[42:43] op_sel_hi:[0,1,1] neg_lo:[0,0,1] neg_hi:[0,0,1]
	v_pk_add_f32 v[68:69], v[58:59], v[42:43] neg_lo:[0,1] neg_hi:[0,1]
	v_pk_add_f32 v[2:3], v[2:3], v[66:67]
	v_pk_mul_f32 v[22:23], v[68:69], v[22:23] op_sel_hi:[1,0]
	v_fmac_f32_e32 v77, 0xbf5db3d7, v35
	v_pk_fma_f32 v[70:71], v[68:69], v[18:19], v[22:23] op_sel:[0,0,1] op_sel_hi:[1,1,0]
	v_pk_fma_f32 v[68:69], v[68:69], v[18:19], v[22:23] op_sel:[0,0,1] op_sel_hi:[1,0,0] neg_lo:[0,0,1] neg_hi:[0,0,1]
	v_pk_add_f32 v[18:19], v[6:7], v[2:3] neg_lo:[0,1] neg_hi:[0,1]
	v_pk_add_f32 v[2:3], v[6:7], v[2:3]
	v_pk_mul_f32 v[22:23], v[18:19], v[24:25] op_sel_hi:[1,0]
	v_mul_f32_e32 v6, v2, v76
	v_fma_f32 v7, v3, v75, -v6
	v_mul_f32_e32 v6, v3, v76
	v_fmac_f32_e32 v6, v2, v75
	v_mad_u64_u32 v[2:3], s[2:3], s8, v38, 0
	v_mov_b32_e32 v16, v3
	v_pk_fma_f32 v[24:25], v[18:19], v[20:21], v[22:23] op_sel:[0,0,1] op_sel_hi:[1,1,0]
	v_pk_fma_f32 v[26:27], v[18:19], v[20:21], v[22:23] op_sel:[0,0,1] op_sel_hi:[1,0,0] neg_lo:[0,0,1] neg_hi:[0,0,1]
	v_mad_u64_u32 v[18:19], s[2:3], s9, v38, v[16:17]
	v_mov_b32_e32 v3, v18
	v_mad_u64_u32 v[18:19], s[2:3], s4, v39, 0
	v_mov_b32_e32 v16, v19
	v_mad_u64_u32 v[20:21], s[2:3], s5, v39, v[16:17]
	s_lshl_b64 s[2:3], s[6:7], 3
	s_add_u32 s2, s12, s2
	s_addc_u32 s3, s13, s3
	v_mov_b32_e32 v19, v20
	v_lshl_add_u64 v[2:3], v[2:3], 3, s[2:3]
	v_lshl_add_u64 v[18:19], v[18:19], 3, v[2:3]
	global_store_dwordx2 v[18:19], v[6:7], off
	v_mad_u64_u32 v[6:7], s[2:3], s4, v82, 0
	v_mov_b32_e32 v16, v7
	v_mad_u64_u32 v[18:19], s[2:3], s5, v82, v[16:17]
	v_fmac_f32_e32 v17, 0x3f5db3d7, v34
	v_mul_f32_e32 v37, 0xbf5db3d7, v17
	v_mul_f32_e32 v25, 0.5, v17
	v_fmac_f32_e32 v37, 0.5, v77
	v_mov_b32_e32 v7, v18
	v_fmac_f32_e32 v25, 0x3f5db3d7, v77
	v_add_f32_e32 v18, v36, v37
	v_add_f32_e32 v16, v65, v25
	v_mul_f32_e32 v17, v18, v74
	v_fma_f32 v17, v16, v73, -v17
	v_mul_f32_e32 v16, v16, v74
	v_fmac_f32_e32 v16, v18, v73
	v_lshl_add_u64 v[6:7], v[6:7], 3, v[2:3]
	global_store_dwordx2 v[6:7], v[16:17], off
	v_pk_add_f32 v[6:7], v[58:59], v[42:43]
	v_mad_u64_u32 v[34:35], s[2:3], s4, v48, 0
	v_mul_f32_e32 v16, v6, v72
	v_mul_f32_e32 v30, v7, v72
	v_fma_f32 v31, v7, v85, -v16
	v_fmac_f32_e32 v30, v6, v85
	v_mad_u64_u32 v[6:7], s[2:3], s4, v49, 0
	v_mov_b32_e32 v16, v7
	v_mad_u64_u32 v[16:17], s[2:3], s5, v49, v[16:17]
	v_mov_b32_e32 v7, v16
	v_mov_b32_e32 v16, v35
	v_mad_u64_u32 v[16:17], s[2:3], s5, v48, v[16:17]
	v_mov_b32_e32 v35, v16
	v_mul_u32_u24_e32 v16, 5, v45
	ds_read_b64 v[28:29], v41
	v_lshlrev_b32_e32 v41, 3, v16
	global_load_dwordx4 v[16:19], v41, s[10:11] offset:272
	global_load_dwordx4 v[20:23], v41, s[10:11] offset:288
	v_lshl_add_u64 v[6:7], v[6:7], 3, v[2:3]
	global_store_dwordx2 v[6:7], v[30:31], off
	global_load_dwordx2 v[6:7], v41, s[10:11] offset:304
	v_mad_u64_u32 v[38:39], s[2:3], s4, v47, 0
	v_mov_b32_e32 v26, v39
	v_mad_u64_u32 v[42:43], s[2:3], s5, v47, v[26:27]
	v_mov_b32_e32 v39, v42
	v_mad_u64_u32 v[42:43], s[2:3], s4, v46, 0
	v_mov_b32_e32 v26, v43
	v_mad_u64_u32 v[46:47], s[2:3], s5, v46, v[26:27]
	v_sub_f32_e32 v26, v36, v37
	v_sub_f32_e32 v25, v65, v25
	v_mul_f32_e32 v36, v26, v84
	v_fma_f32 v37, v25, v83, -v36
	v_mul_f32_e32 v36, v25, v84
	s_movk_i32 s2, 0xb4
	v_fmac_f32_e32 v36, v26, v83
	v_mov_b32_e32 v25, v27
	v_lshl_add_u64 v[26:27], v[34:35], 3, v[2:3]
	v_mad_u32_u24 v40, v44, s2, v40
	v_lshl_add_u64 v[30:31], v[38:39], 3, v[2:3]
	global_store_dwordx2 v[26:27], v[24:25], off
	global_store_dwordx2 v[30:31], v[36:37], off
	v_mad_u64_u32 v[24:25], s[2:3], s4, v40, 0
	v_mov_b32_e32 v26, v25
	v_mad_u64_u32 v[26:27], s[2:3], s5, v40, v[26:27]
	v_add_u32_e32 v31, 36, v40
	v_mov_b32_e32 v43, v46
	v_mov_b32_e32 v25, v26
	v_mad_u64_u32 v[26:27], s[2:3], s4, v31, 0
	v_lshl_add_u64 v[34:35], v[42:43], 3, v[2:3]
	v_mov_b32_e32 v71, v69
	v_mov_b32_e32 v30, v27
	global_store_dwordx2 v[34:35], v[70:71], off
	v_mad_u64_u32 v[30:31], s[2:3], s5, v31, v[30:31]
	v_add_u32_e32 v35, 0x48, v40
	v_mov_b32_e32 v27, v30
	v_mad_u64_u32 v[30:31], s[2:3], s4, v35, 0
	v_mov_b32_e32 v34, v31
	v_mad_u64_u32 v[34:35], s[2:3], s5, v35, v[34:35]
	v_add_u32_e32 v37, 0x6c, v40
	v_mov_b32_e32 v31, v34
	v_mad_u64_u32 v[34:35], s[2:3], s4, v37, 0
	v_mov_b32_e32 v36, v35
	;; [unrolled: 5-line block ×4, first 2 shown]
	v_mad_u64_u32 v[40:41], s[2:3], s5, v41, v[40:41]
	v_mov_b32_e32 v39, v40
	v_lshl_add_u64 v[24:25], v[24:25], 3, v[2:3]
	v_lshl_add_u64 v[26:27], v[26:27], 3, v[2:3]
	;; [unrolled: 1-line block ×6, first 2 shown]
	s_waitcnt vmcnt(6)
	v_mov_b32_e32 v38, v19
	v_pk_mul_f32 v[38:39], v[4:5], v[38:39] op_sel_hi:[1,0]
	v_pk_mul_f32 v[42:43], v[60:61], v[16:17] op_sel:[0,1]
	v_pk_fma_f32 v[40:41], v[4:5], v[18:19], v[38:39] op_sel:[0,0,1] op_sel_hi:[1,1,0]
	v_pk_fma_f32 v[4:5], v[4:5], v[18:19], v[38:39] op_sel:[0,0,1] op_sel_hi:[1,0,0] neg_lo:[0,0,1] neg_hi:[0,0,1]
	v_pk_fma_f32 v[44:45], v[60:61], v[16:17], v[42:43] op_sel:[0,0,1] op_sel_hi:[1,0,0]
	s_waitcnt vmcnt(5)
	v_mov_b32_e32 v4, v23
	v_mov_b32_e32 v41, v5
	v_pk_mul_f32 v[4:5], v[32:33], v[4:5] op_sel_hi:[1,0]
	v_pk_fma_f32 v[16:17], v[60:61], v[16:17], v[42:43] op_sel:[0,0,1] op_sel_hi:[1,0,0] neg_lo:[0,0,1] neg_hi:[0,0,1]
	v_pk_fma_f32 v[18:19], v[32:33], v[22:23], v[4:5] op_sel:[0,0,1] op_sel_hi:[1,1,0]
	v_pk_fma_f32 v[4:5], v[32:33], v[22:23], v[4:5] op_sel:[0,0,1] op_sel_hi:[1,0,0] neg_lo:[0,0,1] neg_hi:[0,0,1]
	v_mov_b32_e32 v45, v17
	v_mov_b32_e32 v19, v5
	v_pk_add_f32 v[4:5], v[40:41], v[18:19] neg_lo:[0,1] neg_hi:[0,1]
	v_pk_add_f32 v[22:23], v[40:41], v[18:19]
	v_pk_mul_f32 v[4:5], v[4:5], s[16:17] op_sel_hi:[1,0]
	s_waitcnt lgkmcnt(0)
	v_pk_fma_f32 v[22:23], v[22:23], 0.5, v[28:29] op_sel_hi:[1,0,1] neg_lo:[1,0,0] neg_hi:[1,0,0]
	s_nop 0
	v_pk_add_f32 v[32:33], v[22:23], v[4:5] op_sel:[0,1] op_sel_hi:[1,0]
	v_pk_add_f32 v[4:5], v[22:23], v[4:5] op_sel:[0,1] op_sel_hi:[1,0] neg_lo:[0,1] neg_hi:[0,1]
	v_pk_mul_f32 v[22:23], v[0:1], v[20:21] op_sel:[0,1]
	s_nop 0
	v_pk_fma_f32 v[38:39], v[0:1], v[20:21], v[22:23] op_sel:[0,0,1] op_sel_hi:[1,1,0]
	v_pk_fma_f32 v[0:1], v[0:1], v[20:21], v[22:23] op_sel:[0,0,1] op_sel_hi:[1,0,0] neg_lo:[0,0,1] neg_hi:[0,0,1]
	v_mov_b32_e32 v21, v5
	v_mov_b32_e32 v39, v1
	s_waitcnt vmcnt(3)
	v_pk_mul_f32 v[0:1], v[62:63], v[6:7] op_sel:[0,1]
	v_mov_b32_e32 v5, v44
	v_pk_fma_f32 v[22:23], v[62:63], v[6:7], v[0:1] op_sel:[0,0,1] op_sel_hi:[1,1,0]
	v_pk_fma_f32 v[0:1], v[62:63], v[6:7], v[0:1] op_sel:[0,0,1] op_sel_hi:[1,0,0] neg_lo:[0,0,1] neg_hi:[0,0,1]
	v_mov_b32_e32 v20, v32
	v_mov_b32_e32 v23, v1
	v_pk_add_f32 v[6:7], v[38:39], v[22:23]
	v_pk_add_f32 v[0:1], v[38:39], v[22:23] neg_lo:[0,1] neg_hi:[0,1]
	v_fmac_f32_e32 v17, -0.5, v7
	v_fmac_f32_e32 v5, -0.5, v6
	v_fmamk_f32 v16, v0, 0xbf5db3d7, v17
	v_fmac_f32_e32 v17, 0x3f5db3d7, v0
	v_fmamk_f32 v6, v1, 0x3f5db3d7, v5
	v_mul_f32_e32 v32, 0.5, v17
	v_mul_f32_e32 v42, 0xbf5db3d7, v17
	v_pk_mul_f32 v[16:17], v[16:17], s[16:17] op_sel_hi:[0,1]
	v_pk_fma_f32 v[6:7], v[6:7], s[0:1], v[16:17] op_sel_hi:[0,1,1] neg_lo:[0,0,1] neg_hi:[0,0,1]
	v_pk_add_f32 v[16:17], v[20:21], v[6:7] neg_lo:[0,1] neg_hi:[0,1]
	v_fmac_f32_e32 v5, 0xbf5db3d7, v1
	v_pk_add_f32 v[0:1], v[44:45], v[38:39]
	v_pk_mul_f32 v[14:15], v[16:17], v[14:15] op_sel_hi:[1,0]
	v_fmac_f32_e32 v42, 0.5, v5
	v_pk_add_f32 v[0:1], v[0:1], v[22:23]
	v_pk_fma_f32 v[22:23], v[16:17], v[12:13], v[14:15] op_sel:[0,0,1] op_sel_hi:[1,1,0]
	v_pk_fma_f32 v[12:13], v[16:17], v[12:13], v[14:15] op_sel:[0,0,1] op_sel_hi:[1,0,0] neg_lo:[0,0,1] neg_hi:[0,0,1]
	v_pk_add_f32 v[16:17], v[28:29], v[40:41]
	v_fmac_f32_e32 v32, 0x3f5db3d7, v5
	v_sub_f32_e32 v12, v4, v42
	v_pk_add_f32 v[16:17], v[16:17], v[18:19]
	v_sub_f32_e32 v5, v33, v32
	v_mul_f32_e32 v14, v12, v56
	v_pk_add_f32 v[18:19], v[16:17], v[0:1] neg_lo:[0,1] neg_hi:[0,1]
	v_pk_add_f32 v[6:7], v[20:21], v[6:7]
	v_fma_f32 v15, v5, v55, -v14
	v_mul_f32_e32 v14, v5, v56
	v_pk_mul_f32 v[10:11], v[18:19], v[10:11] op_sel_hi:[1,0]
	v_mul_f32_e32 v5, v6, v53
	v_pk_fma_f32 v[28:29], v[18:19], v[8:9], v[10:11] op_sel:[0,0,1] op_sel_hi:[1,1,0]
	v_pk_fma_f32 v[8:9], v[18:19], v[8:9], v[10:11] op_sel:[0,0,1] op_sel_hi:[1,0,0] neg_lo:[0,0,1] neg_hi:[0,0,1]
	v_fma_f32 v11, v7, v52, -v5
	v_mul_f32_e32 v10, v7, v53
	v_add_f32_e32 v7, v4, v42
	v_fmac_f32_e32 v10, v6, v52
	v_add_f32_e32 v6, v33, v32
	v_mul_f32_e32 v4, v7, v51
	v_pk_add_f32 v[0:1], v[16:17], v[0:1]
	v_fma_f32 v5, v6, v50, -v4
	v_mul_f32_e32 v4, v6, v51
	v_mul_f32_e32 v6, v0, v57
	v_fmac_f32_e32 v4, v7, v50
	v_fma_f32 v7, v1, v54, -v6
	v_mul_f32_e32 v6, v1, v57
	v_fmac_f32_e32 v6, v0, v54
	v_mov_b32_e32 v29, v9
	v_mov_b32_e32 v23, v13
	v_fmac_f32_e32 v14, v12, v55
	global_store_dwordx2 v[24:25], v[6:7], off
	global_store_dwordx2 v[26:27], v[4:5], off
	;; [unrolled: 1-line block ×6, first 2 shown]
.LBB0_16:
	s_endpgm
	.section	.rodata,"a",@progbits
	.p2align	6, 0x0
	.amdhsa_kernel fft_rtc_back_len216_factors_2_2_3_3_6_wgs_144_tpt_18_dim3_sp_ip_CI_sbcc_twdbase8_2step_dirReg
		.amdhsa_group_segment_fixed_size 0
		.amdhsa_private_segment_fixed_size 0
		.amdhsa_kernarg_size 88
		.amdhsa_user_sgpr_count 2
		.amdhsa_user_sgpr_dispatch_ptr 0
		.amdhsa_user_sgpr_queue_ptr 0
		.amdhsa_user_sgpr_kernarg_segment_ptr 1
		.amdhsa_user_sgpr_dispatch_id 0
		.amdhsa_user_sgpr_kernarg_preload_length 0
		.amdhsa_user_sgpr_kernarg_preload_offset 0
		.amdhsa_user_sgpr_private_segment_size 0
		.amdhsa_uses_dynamic_stack 0
		.amdhsa_enable_private_segment 0
		.amdhsa_system_sgpr_workgroup_id_x 1
		.amdhsa_system_sgpr_workgroup_id_y 0
		.amdhsa_system_sgpr_workgroup_id_z 0
		.amdhsa_system_sgpr_workgroup_info 0
		.amdhsa_system_vgpr_workitem_id 0
		.amdhsa_next_free_vgpr 86
		.amdhsa_next_free_sgpr 26
		.amdhsa_accum_offset 88
		.amdhsa_reserve_vcc 1
		.amdhsa_float_round_mode_32 0
		.amdhsa_float_round_mode_16_64 0
		.amdhsa_float_denorm_mode_32 3
		.amdhsa_float_denorm_mode_16_64 3
		.amdhsa_dx10_clamp 1
		.amdhsa_ieee_mode 1
		.amdhsa_fp16_overflow 0
		.amdhsa_tg_split 0
		.amdhsa_exception_fp_ieee_invalid_op 0
		.amdhsa_exception_fp_denorm_src 0
		.amdhsa_exception_fp_ieee_div_zero 0
		.amdhsa_exception_fp_ieee_overflow 0
		.amdhsa_exception_fp_ieee_underflow 0
		.amdhsa_exception_fp_ieee_inexact 0
		.amdhsa_exception_int_div_zero 0
	.end_amdhsa_kernel
	.text
.Lfunc_end0:
	.size	fft_rtc_back_len216_factors_2_2_3_3_6_wgs_144_tpt_18_dim3_sp_ip_CI_sbcc_twdbase8_2step_dirReg, .Lfunc_end0-fft_rtc_back_len216_factors_2_2_3_3_6_wgs_144_tpt_18_dim3_sp_ip_CI_sbcc_twdbase8_2step_dirReg
                                        ; -- End function
	.section	.AMDGPU.csdata,"",@progbits
; Kernel info:
; codeLenInByte = 7496
; NumSgprs: 32
; NumVgprs: 86
; NumAgprs: 0
; TotalNumVgprs: 86
; ScratchSize: 0
; MemoryBound: 0
; FloatMode: 240
; IeeeMode: 1
; LDSByteSize: 0 bytes/workgroup (compile time only)
; SGPRBlocks: 3
; VGPRBlocks: 10
; NumSGPRsForWavesPerEU: 32
; NumVGPRsForWavesPerEU: 86
; AccumOffset: 88
; Occupancy: 5
; WaveLimiterHint : 1
; COMPUTE_PGM_RSRC2:SCRATCH_EN: 0
; COMPUTE_PGM_RSRC2:USER_SGPR: 2
; COMPUTE_PGM_RSRC2:TRAP_HANDLER: 0
; COMPUTE_PGM_RSRC2:TGID_X_EN: 1
; COMPUTE_PGM_RSRC2:TGID_Y_EN: 0
; COMPUTE_PGM_RSRC2:TGID_Z_EN: 0
; COMPUTE_PGM_RSRC2:TIDIG_COMP_CNT: 0
; COMPUTE_PGM_RSRC3_GFX90A:ACCUM_OFFSET: 21
; COMPUTE_PGM_RSRC3_GFX90A:TG_SPLIT: 0
	.text
	.p2alignl 6, 3212836864
	.fill 256, 4, 3212836864
	.type	__hip_cuid_cd439da9a9bbfa85,@object ; @__hip_cuid_cd439da9a9bbfa85
	.section	.bss,"aw",@nobits
	.globl	__hip_cuid_cd439da9a9bbfa85
__hip_cuid_cd439da9a9bbfa85:
	.byte	0                               ; 0x0
	.size	__hip_cuid_cd439da9a9bbfa85, 1

	.ident	"AMD clang version 19.0.0git (https://github.com/RadeonOpenCompute/llvm-project roc-6.4.0 25133 c7fe45cf4b819c5991fe208aaa96edf142730f1d)"
	.section	".note.GNU-stack","",@progbits
	.addrsig
	.addrsig_sym __hip_cuid_cd439da9a9bbfa85
	.amdgpu_metadata
---
amdhsa.kernels:
  - .agpr_count:     0
    .args:
      - .actual_access:  read_only
        .address_space:  global
        .offset:         0
        .size:           8
        .value_kind:     global_buffer
      - .address_space:  global
        .offset:         8
        .size:           8
        .value_kind:     global_buffer
      - .actual_access:  read_only
        .address_space:  global
        .offset:         16
        .size:           8
        .value_kind:     global_buffer
      - .actual_access:  read_only
        .address_space:  global
        .offset:         24
        .size:           8
        .value_kind:     global_buffer
      - .offset:         32
        .size:           8
        .value_kind:     by_value
      - .actual_access:  read_only
        .address_space:  global
        .offset:         40
        .size:           8
        .value_kind:     global_buffer
      - .actual_access:  read_only
        .address_space:  global
        .offset:         48
        .size:           8
        .value_kind:     global_buffer
      - .offset:         56
        .size:           4
        .value_kind:     by_value
      - .actual_access:  read_only
        .address_space:  global
        .offset:         64
        .size:           8
        .value_kind:     global_buffer
      - .actual_access:  read_only
        .address_space:  global
        .offset:         72
        .size:           8
        .value_kind:     global_buffer
      - .address_space:  global
        .offset:         80
        .size:           8
        .value_kind:     global_buffer
    .group_segment_fixed_size: 0
    .kernarg_segment_align: 8
    .kernarg_segment_size: 88
    .language:       OpenCL C
    .language_version:
      - 2
      - 0
    .max_flat_workgroup_size: 144
    .name:           fft_rtc_back_len216_factors_2_2_3_3_6_wgs_144_tpt_18_dim3_sp_ip_CI_sbcc_twdbase8_2step_dirReg
    .private_segment_fixed_size: 0
    .sgpr_count:     32
    .sgpr_spill_count: 0
    .symbol:         fft_rtc_back_len216_factors_2_2_3_3_6_wgs_144_tpt_18_dim3_sp_ip_CI_sbcc_twdbase8_2step_dirReg.kd
    .uniform_work_group_size: 1
    .uses_dynamic_stack: false
    .vgpr_count:     86
    .vgpr_spill_count: 0
    .wavefront_size: 64
amdhsa.target:   amdgcn-amd-amdhsa--gfx950
amdhsa.version:
  - 1
  - 2
...

	.end_amdgpu_metadata
